;; amdgpu-corpus repo=ROCm/rocFFT kind=compiled arch=gfx1201 opt=O3
	.text
	.amdgcn_target "amdgcn-amd-amdhsa--gfx1201"
	.amdhsa_code_object_version 6
	.protected	fft_rtc_back_len243_factors_3_3_9_3_wgs_432_tpt_27_dim3_sp_op_CI_CI_sbcc_twdbase8_3step_dirReg ; -- Begin function fft_rtc_back_len243_factors_3_3_9_3_wgs_432_tpt_27_dim3_sp_op_CI_CI_sbcc_twdbase8_3step_dirReg
	.globl	fft_rtc_back_len243_factors_3_3_9_3_wgs_432_tpt_27_dim3_sp_op_CI_CI_sbcc_twdbase8_3step_dirReg
	.p2align	8
	.type	fft_rtc_back_len243_factors_3_3_9_3_wgs_432_tpt_27_dim3_sp_op_CI_CI_sbcc_twdbase8_3step_dirReg,@function
fft_rtc_back_len243_factors_3_3_9_3_wgs_432_tpt_27_dim3_sp_op_CI_CI_sbcc_twdbase8_3step_dirReg: ; @fft_rtc_back_len243_factors_3_3_9_3_wgs_432_tpt_27_dim3_sp_op_CI_CI_sbcc_twdbase8_3step_dirReg
; %bb.0:
	s_load_b128 s[4:7], s[0:1], 0x10
	s_mov_b32 s18, ttmp9
	s_mov_b32 s19, 0
	s_mov_b64 s[28:29], 0
	s_wait_kmcnt 0x0
	s_load_b64 s[22:23], s[4:5], 0x8
	s_wait_kmcnt 0x0
	s_add_nc_u64 s[2:3], s[22:23], -1
	s_delay_alu instid0(SALU_CYCLE_1) | instskip(NEXT) | instid1(SALU_CYCLE_1)
	s_lshr_b64 s[2:3], s[2:3], 4
	s_add_nc_u64 s[26:27], s[2:3], 1
	s_delay_alu instid0(SALU_CYCLE_1) | instskip(NEXT) | instid1(VALU_DEP_1)
	v_cmp_lt_u64_e64 s2, s[18:19], s[26:27]
	s_and_b32 vcc_lo, exec_lo, s2
	s_cbranch_vccnz .LBB0_2
; %bb.1:
	v_cvt_f32_u32_e32 v1, s26
	s_sub_co_i32 s3, 0, s26
	s_mov_b32 s29, s19
	s_delay_alu instid0(VALU_DEP_1) | instskip(NEXT) | instid1(TRANS32_DEP_1)
	v_rcp_iflag_f32_e32 v1, v1
	v_mul_f32_e32 v1, 0x4f7ffffe, v1
	s_delay_alu instid0(VALU_DEP_1) | instskip(NEXT) | instid1(VALU_DEP_1)
	v_cvt_u32_f32_e32 v1, v1
	v_readfirstlane_b32 s2, v1
	s_delay_alu instid0(VALU_DEP_1) | instskip(NEXT) | instid1(SALU_CYCLE_1)
	s_mul_i32 s3, s3, s2
	s_mul_hi_u32 s3, s2, s3
	s_delay_alu instid0(SALU_CYCLE_1) | instskip(NEXT) | instid1(SALU_CYCLE_1)
	s_add_co_i32 s2, s2, s3
	s_mul_hi_u32 s2, s18, s2
	s_delay_alu instid0(SALU_CYCLE_1) | instskip(SKIP_2) | instid1(SALU_CYCLE_1)
	s_mul_i32 s3, s2, s26
	s_add_co_i32 s8, s2, 1
	s_sub_co_i32 s3, s18, s3
	s_sub_co_i32 s9, s3, s26
	s_cmp_ge_u32 s3, s26
	s_cselect_b32 s2, s8, s2
	s_cselect_b32 s3, s9, s3
	s_add_co_i32 s8, s2, 1
	s_cmp_ge_u32 s3, s26
	s_cselect_b32 s28, s8, s2
.LBB0_2:
	s_load_b64 s[8:9], s[4:5], 0x10
	s_load_b64 s[4:5], s[0:1], 0x20
	s_wait_kmcnt 0x0
	v_cmp_lt_u64_e64 s2, s[28:29], s[8:9]
	s_delay_alu instid0(VALU_DEP_1)
	s_and_b32 vcc_lo, exec_lo, s2
	s_mov_b64 s[2:3], s[28:29]
	s_cbranch_vccnz .LBB0_4
; %bb.3:
	v_cvt_f32_u32_e32 v1, s8
	s_sub_co_i32 s3, 0, s8
	s_delay_alu instid0(VALU_DEP_1) | instskip(NEXT) | instid1(TRANS32_DEP_1)
	v_rcp_iflag_f32_e32 v1, v1
	v_mul_f32_e32 v1, 0x4f7ffffe, v1
	s_delay_alu instid0(VALU_DEP_1) | instskip(NEXT) | instid1(VALU_DEP_1)
	v_cvt_u32_f32_e32 v1, v1
	v_readfirstlane_b32 s2, v1
	s_delay_alu instid0(VALU_DEP_1) | instskip(NEXT) | instid1(SALU_CYCLE_1)
	s_mul_i32 s3, s3, s2
	s_mul_hi_u32 s3, s2, s3
	s_delay_alu instid0(SALU_CYCLE_1) | instskip(NEXT) | instid1(SALU_CYCLE_1)
	s_add_co_i32 s2, s2, s3
	s_mul_hi_u32 s2, s28, s2
	s_delay_alu instid0(SALU_CYCLE_1) | instskip(NEXT) | instid1(SALU_CYCLE_1)
	s_mul_i32 s2, s2, s8
	s_sub_co_i32 s2, s28, s2
	s_delay_alu instid0(SALU_CYCLE_1)
	s_sub_co_i32 s3, s2, s8
	s_cmp_ge_u32 s2, s8
	s_cselect_b32 s2, s3, s2
	s_mov_b32 s3, 0
	s_sub_co_i32 s10, s2, s8
	s_cmp_ge_u32 s2, s8
	s_cselect_b32 s2, s10, s2
.LBB0_4:
	s_clause 0x1
	s_load_b128 s[12:15], s[6:7], 0x0
	s_load_b64 s[30:31], s[6:7], 0x10
	s_mul_u64 s[8:9], s[8:9], s[26:27]
	s_mov_b64 s[16:17], 0
	s_wait_alu 0xfffe
	v_cmp_lt_u64_e64 s9, s[18:19], s[8:9]
	s_delay_alu instid0(VALU_DEP_1)
	s_and_b32 vcc_lo, exec_lo, s9
	s_cbranch_vccnz .LBB0_6
; %bb.5:
	v_cvt_f32_u32_e32 v1, s8
	s_sub_co_i32 s10, 0, s8
	s_mov_b32 s17, 0
	s_delay_alu instid0(VALU_DEP_1) | instskip(NEXT) | instid1(TRANS32_DEP_1)
	v_rcp_iflag_f32_e32 v1, v1
	v_mul_f32_e32 v1, 0x4f7ffffe, v1
	s_delay_alu instid0(VALU_DEP_1) | instskip(NEXT) | instid1(VALU_DEP_1)
	v_cvt_u32_f32_e32 v1, v1
	v_readfirstlane_b32 s9, v1
	s_delay_alu instid0(VALU_DEP_1) | instskip(NEXT) | instid1(SALU_CYCLE_1)
	s_mul_i32 s10, s10, s9
	s_mul_hi_u32 s10, s9, s10
	s_delay_alu instid0(SALU_CYCLE_1)
	s_add_co_i32 s9, s9, s10
	s_wait_alu 0xfffe
	s_mul_hi_u32 s9, s18, s9
	s_wait_alu 0xfffe
	s_mul_i32 s10, s9, s8
	s_add_co_i32 s11, s9, 1
	s_sub_co_i32 s10, s18, s10
	s_delay_alu instid0(SALU_CYCLE_1)
	s_sub_co_i32 s16, s10, s8
	s_cmp_ge_u32 s10, s8
	s_cselect_b32 s9, s11, s9
	s_cselect_b32 s10, s16, s10
	s_wait_alu 0xfffe
	s_add_co_i32 s11, s9, 1
	s_cmp_ge_u32 s10, s8
	s_cselect_b32 s16, s11, s9
.LBB0_6:
	s_load_b64 s[34:35], s[6:7], 0x18
	s_load_b256 s[4:11], s[4:5], 0x0
	s_clause 0x1
	s_load_b64 s[20:21], s[0:1], 0x0
	s_load_b64 s[24:25], s[0:1], 0x58
	s_mul_u64 s[26:27], s[28:29], s[26:27]
	s_wait_kmcnt 0x0
	s_mul_u64 s[28:29], s[30:31], s[2:3]
	s_wait_alu 0xfffe
	s_sub_nc_u64 s[18:19], s[18:19], s[26:27]
	v_lshrrev_b32_e32 v28, 4, v0
	s_wait_alu 0xfffe
	s_lshl_b64 s[18:19], s[18:19], 4
	s_wait_alu 0xfffe
	v_dual_mov_b32 v6, s19 :: v_dual_and_b32 v27, 15, v0
	s_add_nc_u64 s[26:27], s[18:19], 16
	s_mul_u64 s[30:31], s[14:15], s[18:19]
	s_wait_alu 0xfffe
	v_cmp_gt_u64_e64 s33, s[26:27], s[22:23]
	s_add_nc_u64 s[30:31], s[28:29], s[30:31]
	v_cmp_le_u64_e64 s28, s[26:27], s[22:23]
	v_or_b32_e32 v5, s18, v27
	s_delay_alu instid0(VALU_DEP_3)
	s_and_b32 vcc_lo, exec_lo, s33
	s_mul_u64 s[26:27], s[34:35], s[16:17]
	s_wait_alu 0xfffe
	s_add_nc_u64 s[26:27], s[26:27], s[30:31]
	s_cbranch_vccz .LBB0_12
; %bb.7:
	s_mov_b32 s29, exec_lo
                                        ; implicit-def: $vgpr29
                                        ; implicit-def: $vgpr30
                                        ; implicit-def: $vgpr1_vgpr2
                                        ; implicit-def: $vgpr3_vgpr4
	v_cmpx_le_u64_e64 s[22:23], v[5:6]
	s_wait_alu 0xfffe
	s_xor_b32 s29, exec_lo, s29
                                        ; implicit-def: $vgpr7_vgpr8
; %bb.8:
	v_dual_mov_b32 v8, 0 :: v_dual_add_nc_u32 v29, 27, v28
	v_add_nc_u32_e32 v30, 54, v28
	v_add_nc_u32_e32 v1, 0x51, v28
	s_delay_alu instid0(VALU_DEP_3)
	v_dual_mov_b32 v4, v8 :: v_dual_add_nc_u32 v3, 0xa2, v28
	v_mov_b32_e32 v2, v8
; %bb.9:
	s_wait_alu 0xfffe
	s_or_saveexec_b32 s29, s29
                                        ; implicit-def: $vgpr11
                                        ; implicit-def: $vgpr23
                                        ; implicit-def: $vgpr13
                                        ; implicit-def: $vgpr15
                                        ; implicit-def: $vgpr19
                                        ; implicit-def: $vgpr25
                                        ; implicit-def: $vgpr9
                                        ; implicit-def: $vgpr17
                                        ; implicit-def: $vgpr21
	s_wait_alu 0xfffe
	s_xor_b32 exec_lo, exec_lo, s29
	s_cbranch_execz .LBB0_11
; %bb.10:
	v_mad_co_u64_u32 v[7:8], null, s14, v27, 0
	v_mad_co_u64_u32 v[9:10], null, s12, v28, 0
	v_add_nc_u32_e32 v1, 0x51, v28
	v_add_nc_u32_e32 v3, 0xa2, v28
	s_lshl_b64 s[30:31], s[26:27], 3
	v_add_nc_u32_e32 v30, 54, v28
	v_mov_b32_e32 v2, v8
	s_add_nc_u64 s[30:31], s[24:25], s[30:31]
	v_mov_b32_e32 v4, v10
	v_mad_co_u64_u32 v[13:14], null, s12, v3, 0
	s_delay_alu instid0(VALU_DEP_3) | instskip(SKIP_1) | instid1(VALU_DEP_4)
	v_mad_co_u64_u32 v[10:11], null, s15, v27, v[2:3]
	v_mad_co_u64_u32 v[11:12], null, s12, v1, 0
	;; [unrolled: 1-line block ×3, first 2 shown]
	s_delay_alu instid0(VALU_DEP_4) | instskip(NEXT) | instid1(VALU_DEP_4)
	v_dual_mov_b32 v4, v14 :: v_dual_add_nc_u32 v29, 27, v28
	v_dual_mov_b32 v8, v10 :: v_dual_add_nc_u32 v21, 0x6c, v28
	s_delay_alu instid0(VALU_DEP_4) | instskip(NEXT) | instid1(VALU_DEP_3)
	v_mov_b32_e32 v2, v12
	v_mad_co_u64_u32 v[16:17], null, s12, v29, 0
	v_mov_b32_e32 v10, v15
	s_delay_alu instid0(VALU_DEP_4) | instskip(NEXT) | instid1(VALU_DEP_4)
	v_lshlrev_b64_e32 v[7:8], 3, v[7:8]
	v_mad_co_u64_u32 v[14:15], null, s13, v1, v[2:3]
	v_mad_co_u64_u32 v[18:19], null, s13, v3, v[4:5]
	s_delay_alu instid0(VALU_DEP_4) | instskip(NEXT) | instid1(VALU_DEP_4)
	v_lshlrev_b64_e32 v[9:10], 3, v[9:10]
	v_add_co_u32 v4, vcc_lo, s30, v7
	v_add_co_ci_u32_e32 v37, vcc_lo, s31, v8, vcc_lo
	v_mov_b32_e32 v12, v14
	v_mov_b32_e32 v2, v17
	s_delay_alu instid0(VALU_DEP_4)
	v_add_co_u32 v7, vcc_lo, v4, v9
	s_wait_alu 0xfffd
	v_add_co_ci_u32_e32 v8, vcc_lo, v37, v10, vcc_lo
	v_lshlrev_b64_e32 v[9:10], 3, v[11:12]
	v_mov_b32_e32 v14, v18
	v_mad_co_u64_u32 v[11:12], null, s13, v29, v[2:3]
	v_mad_co_u64_u32 v[19:20], null, s12, v21, 0
	v_add_nc_u32_e32 v18, 0xbd, v28
	s_delay_alu instid0(VALU_DEP_4) | instskip(SKIP_2) | instid1(VALU_DEP_4)
	v_lshlrev_b64_e32 v[12:13], 3, v[13:14]
	v_add_co_u32 v9, vcc_lo, v4, v9
	v_mov_b32_e32 v17, v11
	v_mad_co_u64_u32 v[14:15], null, s12, v18, 0
	v_mov_b32_e32 v2, v20
	s_wait_alu 0xfffd
	v_add_co_ci_u32_e32 v10, vcc_lo, v37, v10, vcc_lo
	v_add_co_u32 v23, vcc_lo, v4, v12
	s_wait_alu 0xfffd
	v_add_co_ci_u32_e32 v24, vcc_lo, v37, v13, vcc_lo
	v_add_nc_u32_e32 v13, 0x87, v28
	v_lshlrev_b64_e32 v[11:12], 3, v[16:17]
	v_mad_co_u64_u32 v[16:17], null, s13, v21, v[2:3]
	v_mad_co_u64_u32 v[25:26], null, s12, v30, 0
	v_mov_b32_e32 v2, v15
	v_add_nc_u32_e32 v38, 0xd8, v28
	v_mad_co_u64_u32 v[33:34], null, s12, v13, 0
	v_mov_b32_e32 v20, v16
	s_delay_alu instid0(VALU_DEP_4) | instskip(SKIP_3) | instid1(VALU_DEP_3)
	v_mad_co_u64_u32 v[15:16], null, s13, v18, v[2:3]
	v_mov_b32_e32 v2, v26
	v_mad_co_u64_u32 v[35:36], null, s12, v38, 0
	v_add_co_u32 v31, vcc_lo, v4, v11
	v_mad_co_u64_u32 v[16:17], null, s13, v30, v[2:3]
	v_mov_b32_e32 v2, v34
	s_wait_alu 0xfffd
	v_add_co_ci_u32_e32 v32, vcc_lo, v37, v12, vcc_lo
	s_clause 0x3
	global_load_b64 v[11:12], v[7:8], off
	global_load_b64 v[21:22], v[9:10], off
	;; [unrolled: 1-line block ×4, first 2 shown]
	v_lshlrev_b64_e32 v[7:8], 3, v[19:20]
	v_mad_co_u64_u32 v[19:20], null, s13, v13, v[2:3]
	v_mov_b32_e32 v2, v36
	v_mov_b32_e32 v26, v16
	v_lshlrev_b64_e32 v[13:14], 3, v[14:15]
	v_add_co_u32 v7, vcc_lo, v4, v7
	s_delay_alu instid0(VALU_DEP_4) | instskip(NEXT) | instid1(VALU_DEP_4)
	v_mad_co_u64_u32 v[15:16], null, s13, v38, v[2:3]
	v_lshlrev_b64_e32 v[23:24], 3, v[25:26]
	v_mov_b32_e32 v34, v19
	s_wait_alu 0xfffd
	v_add_co_ci_u32_e32 v8, vcc_lo, v37, v8, vcc_lo
	v_add_co_u32 v13, vcc_lo, v4, v13
	v_mov_b32_e32 v36, v15
	s_wait_alu 0xfffd
	v_add_co_ci_u32_e32 v14, vcc_lo, v37, v14, vcc_lo
	v_lshlrev_b64_e32 v[19:20], 3, v[33:34]
	v_add_co_u32 v15, vcc_lo, v4, v23
	s_wait_alu 0xfffd
	v_add_co_ci_u32_e32 v16, vcc_lo, v37, v24, vcc_lo
	v_lshlrev_b64_e32 v[23:24], 3, v[35:36]
	s_delay_alu instid0(VALU_DEP_4) | instskip(SKIP_2) | instid1(VALU_DEP_3)
	v_add_co_u32 v19, vcc_lo, v4, v19
	s_wait_alu 0xfffd
	v_add_co_ci_u32_e32 v20, vcc_lo, v37, v20, vcc_lo
	v_add_co_u32 v31, vcc_lo, v4, v23
	s_wait_alu 0xfffd
	v_add_co_ci_u32_e32 v32, vcc_lo, v37, v24, vcc_lo
	s_clause 0x4
	global_load_b64 v[25:26], v[7:8], off
	global_load_b64 v[23:24], v[13:14], off
	;; [unrolled: 1-line block ×5, first 2 shown]
	v_mov_b32_e32 v8, 0
	s_delay_alu instid0(VALU_DEP_1)
	v_mov_b32_e32 v2, v8
	v_mov_b32_e32 v4, v8
.LBB0_11:
	s_or_b32 exec_lo, exec_lo, s29
	s_cbranch_execz .LBB0_13
	s_branch .LBB0_14
.LBB0_12:
                                        ; implicit-def: $vgpr11
                                        ; implicit-def: $vgpr23
                                        ; implicit-def: $vgpr13
                                        ; implicit-def: $vgpr15
                                        ; implicit-def: $vgpr19
                                        ; implicit-def: $vgpr25
                                        ; implicit-def: $vgpr9
                                        ; implicit-def: $vgpr17
                                        ; implicit-def: $vgpr21
                                        ; implicit-def: $vgpr29
                                        ; implicit-def: $vgpr30
                                        ; implicit-def: $vgpr1_vgpr2
                                        ; implicit-def: $vgpr3_vgpr4
                                        ; implicit-def: $vgpr7_vgpr8
.LBB0_13:
	v_mad_co_u64_u32 v[7:8], null, s14, v27, 0
	s_wait_loadcnt 0x5
	v_mad_co_u64_u32 v[9:10], null, s12, v28, 0
	v_add_nc_u32_e32 v1, 0x51, v28
	v_add_nc_u32_e32 v3, 0xa2, v28
	s_wait_alu 0xfffe
	s_lshl_b64 s[26:27], s[26:27], 3
	v_add_nc_u32_e32 v30, 54, v28
	v_mov_b32_e32 v2, v8
	v_add_nc_u32_e32 v38, 0xd8, v28
	v_mov_b32_e32 v4, v10
	s_wait_loadcnt 0x2
	v_mad_co_u64_u32 v[13:14], null, s12, v3, 0
	v_mad_co_u64_u32 v[10:11], null, s15, v27, v[2:3]
	;; [unrolled: 1-line block ×3, first 2 shown]
	s_wait_loadcnt 0x1
	v_mad_co_u64_u32 v[15:16], null, s13, v28, v[4:5]
	s_delay_alu instid0(VALU_DEP_4) | instskip(NEXT) | instid1(VALU_DEP_4)
	v_dual_mov_b32 v4, v14 :: v_dual_add_nc_u32 v29, 27, v28
	v_dual_mov_b32 v8, v10 :: v_dual_add_nc_u32 v21, 0x6c, v28
	s_delay_alu instid0(VALU_DEP_4) | instskip(NEXT) | instid1(VALU_DEP_3)
	v_mov_b32_e32 v2, v12
	v_mad_co_u64_u32 v[16:17], null, s12, v29, 0
	v_mov_b32_e32 v10, v15
	s_delay_alu instid0(VALU_DEP_4) | instskip(NEXT) | instid1(VALU_DEP_4)
	v_lshlrev_b64_e32 v[7:8], 3, v[7:8]
	v_mad_co_u64_u32 v[14:15], null, s13, v1, v[2:3]
	s_wait_alu 0xfffe
	s_add_nc_u64 s[14:15], s[24:25], s[26:27]
	s_wait_loadcnt 0x0
	v_mad_co_u64_u32 v[18:19], null, s13, v3, v[4:5]
	v_lshlrev_b64_e32 v[9:10], 3, v[9:10]
	s_wait_alu 0xfffe
	v_add_co_u32 v4, vcc_lo, s14, v7
	s_wait_alu 0xfffd
	v_add_co_ci_u32_e32 v37, vcc_lo, s15, v8, vcc_lo
	v_mov_b32_e32 v12, v14
	v_mov_b32_e32 v2, v17
	v_add_co_u32 v7, vcc_lo, v4, v9
	s_wait_alu 0xfffd
	v_add_co_ci_u32_e32 v8, vcc_lo, v37, v10, vcc_lo
	v_lshlrev_b64_e32 v[9:10], 3, v[11:12]
	v_mov_b32_e32 v14, v18
	v_mad_co_u64_u32 v[11:12], null, s13, v29, v[2:3]
	v_mad_co_u64_u32 v[19:20], null, s12, v21, 0
	v_add_nc_u32_e32 v18, 0xbd, v28
	s_delay_alu instid0(VALU_DEP_4) | instskip(SKIP_2) | instid1(VALU_DEP_4)
	v_lshlrev_b64_e32 v[12:13], 3, v[13:14]
	v_add_co_u32 v9, vcc_lo, v4, v9
	v_mov_b32_e32 v17, v11
	v_mad_co_u64_u32 v[14:15], null, s12, v18, 0
	v_mov_b32_e32 v2, v20
	s_wait_alu 0xfffd
	v_add_co_ci_u32_e32 v10, vcc_lo, v37, v10, vcc_lo
	v_add_co_u32 v23, vcc_lo, v4, v12
	s_wait_alu 0xfffd
	v_add_co_ci_u32_e32 v24, vcc_lo, v37, v13, vcc_lo
	v_add_nc_u32_e32 v13, 0x87, v28
	v_lshlrev_b64_e32 v[11:12], 3, v[16:17]
	v_mad_co_u64_u32 v[16:17], null, s13, v21, v[2:3]
	v_mad_co_u64_u32 v[25:26], null, s12, v30, 0
	v_mov_b32_e32 v2, v15
	v_mad_co_u64_u32 v[33:34], null, s12, v13, 0
	v_mad_co_u64_u32 v[35:36], null, s12, v38, 0
	v_mov_b32_e32 v20, v16
	s_delay_alu instid0(VALU_DEP_4) | instskip(SKIP_4) | instid1(VALU_DEP_3)
	v_mad_co_u64_u32 v[15:16], null, s13, v18, v[2:3]
	v_mov_b32_e32 v2, v26
	v_add_co_u32 v31, vcc_lo, v4, v11
	s_wait_alu 0xfffd
	v_add_co_ci_u32_e32 v32, vcc_lo, v37, v12, vcc_lo
	v_mad_co_u64_u32 v[16:17], null, s13, v30, v[2:3]
	v_mov_b32_e32 v2, v34
	s_clause 0x3
	global_load_b64 v[11:12], v[7:8], off
	global_load_b64 v[21:22], v[9:10], off
	;; [unrolled: 1-line block ×4, first 2 shown]
	v_lshlrev_b64_e32 v[7:8], 3, v[19:20]
	v_mad_co_u64_u32 v[19:20], null, s13, v13, v[2:3]
	v_mov_b32_e32 v2, v36
	v_mov_b32_e32 v26, v16
	v_lshlrev_b64_e32 v[13:14], 3, v[14:15]
	v_add_co_u32 v7, vcc_lo, v4, v7
	s_delay_alu instid0(VALU_DEP_4) | instskip(NEXT) | instid1(VALU_DEP_4)
	v_mad_co_u64_u32 v[15:16], null, s13, v38, v[2:3]
	v_lshlrev_b64_e32 v[23:24], 3, v[25:26]
	v_mov_b32_e32 v34, v19
	s_wait_alu 0xfffd
	v_add_co_ci_u32_e32 v8, vcc_lo, v37, v8, vcc_lo
	v_add_co_u32 v13, vcc_lo, v4, v13
	v_mov_b32_e32 v36, v15
	s_wait_alu 0xfffd
	v_add_co_ci_u32_e32 v14, vcc_lo, v37, v14, vcc_lo
	v_lshlrev_b64_e32 v[19:20], 3, v[33:34]
	v_add_co_u32 v15, vcc_lo, v4, v23
	s_wait_alu 0xfffd
	v_add_co_ci_u32_e32 v16, vcc_lo, v37, v24, vcc_lo
	v_lshlrev_b64_e32 v[23:24], 3, v[35:36]
	s_delay_alu instid0(VALU_DEP_4) | instskip(SKIP_2) | instid1(VALU_DEP_3)
	v_add_co_u32 v19, vcc_lo, v4, v19
	s_wait_alu 0xfffd
	v_add_co_ci_u32_e32 v20, vcc_lo, v37, v20, vcc_lo
	v_add_co_u32 v31, vcc_lo, v4, v23
	s_wait_alu 0xfffd
	v_add_co_ci_u32_e32 v32, vcc_lo, v37, v24, vcc_lo
	s_clause 0x4
	global_load_b64 v[25:26], v[7:8], off
	global_load_b64 v[23:24], v[13:14], off
	;; [unrolled: 1-line block ×5, first 2 shown]
	v_mov_b32_e32 v8, 0
	s_delay_alu instid0(VALU_DEP_1)
	v_mov_b32_e32 v2, v8
	v_mov_b32_e32 v4, v8
.LBB0_14:
	s_wait_loadcnt 0x6
	v_dual_add_f32 v7, v21, v17 :: v_dual_sub_f32 v32, v22, v18
	v_add_f32_e32 v33, v22, v18
	v_add_f32_e32 v31, v21, v11
	v_mul_u32_u24_e32 v35, 0x180, v28
	s_delay_alu instid0(VALU_DEP_4)
	v_fmac_f32_e32 v11, -0.5, v7
	s_wait_loadcnt 0x3
	v_dual_add_f32 v7, v22, v12 :: v_dual_add_f32 v22, v25, v23
	v_dual_fmac_f32 v12, -0.5, v33 :: v_dual_add_f32 v31, v17, v31
	v_sub_f32_e32 v17, v21, v17
	v_cmp_gt_u64_e32 vcc_lo, s[22:23], v[5:6]
	s_delay_alu instid0(VALU_DEP_2)
	v_fmamk_f32 v34, v17, 0x3f5db3d7, v12
	v_fmamk_f32 v33, v32, 0xbf5db3d7, v11
	v_dual_fmac_f32 v11, 0x3f5db3d7, v32 :: v_dual_add_f32 v32, v18, v7
	v_add_f32_e32 v7, v9, v25
	v_dual_fmac_f32 v9, -0.5, v22 :: v_dual_sub_f32 v18, v26, v24
	v_add_f32_e32 v22, v10, v26
	v_fmac_f32_e32 v12, 0xbf5db3d7, v17
	s_or_b32 s12, s28, vcc_lo
	s_delay_alu instid0(VALU_DEP_3) | instskip(NEXT) | instid1(VALU_DEP_3)
	v_fmamk_f32 v21, v18, 0xbf5db3d7, v9
	v_dual_fmac_f32 v9, 0x3f5db3d7, v18 :: v_dual_add_f32 v18, v22, v24
	v_add_f32_e32 v17, v7, v23
	s_wait_loadcnt 0x0
	v_dual_add_f32 v7, v26, v24 :: v_dual_add_f32 v26, v19, v15
	v_sub_f32_e32 v24, v16, v20
	s_delay_alu instid0(VALU_DEP_2) | instskip(SKIP_4) | instid1(VALU_DEP_2)
	v_fmac_f32_e32 v10, -0.5, v7
	v_sub_f32_e32 v7, v25, v23
	v_add_f32_e32 v23, v15, v13
	v_fmac_f32_e32 v13, -0.5, v26
	v_add_f32_e32 v26, v16, v14
	v_fmamk_f32 v25, v24, 0xbf5db3d7, v13
	s_delay_alu instid0(VALU_DEP_2) | instskip(SKIP_4) | instid1(VALU_DEP_3)
	v_dual_fmac_f32 v13, 0x3f5db3d7, v24 :: v_dual_add_f32 v24, v20, v26
	v_fmamk_f32 v22, v7, 0x3f5db3d7, v10
	v_dual_fmac_f32 v10, 0xbf5db3d7, v7 :: v_dual_add_f32 v7, v20, v16
	v_lshlrev_b32_e32 v16, 3, v27
	v_add_f32_e32 v23, v19, v23
	v_fmac_f32_e32 v14, -0.5, v7
	v_sub_f32_e32 v7, v15, v19
	s_delay_alu instid0(VALU_DEP_4) | instskip(SKIP_1) | instid1(VALU_DEP_3)
	v_add3_u32 v15, 0, v35, v16
	v_mul_i32_i24_e32 v19, 0x180, v29
	v_fmamk_f32 v26, v7, 0x3f5db3d7, v14
	v_fmac_f32_e32 v14, 0xbf5db3d7, v7
	v_mul_lo_u16 v7, 0x56, v28
	ds_store_b64 v15, v[11:12] offset:256
	v_and_b32_e32 v11, 0xff, v29
	ds_store_2addr_b64 v15, v[31:32], v[33:34] offset1:16
	v_add3_u32 v31, 0, v19, v16
	v_lshrrev_b16 v32, 8, v7
	v_and_b32_e32 v12, 0xff, v30
	v_mul_lo_u16 v11, 0xab, v11
	v_mul_i32_i24_e32 v7, 0x180, v30
	ds_store_2addr_b64 v31, v[17:18], v[21:22] offset1:16
	v_mul_lo_u16 v17, v32, 3
	ds_store_b64 v31, v[9:10] offset:256
	v_mul_lo_u16 v9, 0xab, v12
	v_lshrrev_b16 v35, 9, v11
	v_add3_u32 v7, 0, v7, v16
	v_sub_nc_u16 v10, v28, v17
	ds_store_2addr_b64 v7, v[23:24], v[25:26] offset1:16
	ds_store_b64 v7, v[13:14] offset:256
	v_lshrrev_b16 v39, 9, v9
	v_mul_lo_u16 v9, v35, 3
	v_and_b32_e32 v43, 0xff, v10
	global_wb scope:SCOPE_SE
	s_wait_dscnt 0x0
	s_barrier_signal -1
	v_mul_lo_u16 v10, v39, 3
	v_sub_nc_u16 v9, v29, v9
	v_lshlrev_b32_e32 v11, 4, v43
	s_barrier_wait -1
	global_inv scope:SCOPE_SE
	v_sub_nc_u16 v10, v30, v10
	v_and_b32_e32 v47, 0xff, v9
	global_load_b128 v[11:14], v11, s[20:21]
	v_and_b32_e32 v48, 0xff, v10
	v_lshlrev_b32_e32 v9, 4, v47
	s_delay_alu instid0(VALU_DEP_2)
	v_lshlrev_b32_e32 v10, 4, v48
	s_clause 0x1
	global_load_b128 v[17:20], v9, s[20:21]
	global_load_b128 v[21:24], v10, s[20:21]
	v_mul_lo_u16 v9, v28, 29
	v_lshlrev_b32_e32 v10, 8, v28
	v_lshlrev_b32_e32 v26, 8, v30
	;; [unrolled: 1-line block ×3, first 2 shown]
	v_and_b32_e32 v44, 0xffff, v35
	v_lshrrev_b16 v49, 8, v9
	v_sub_nc_u32_e32 v9, v15, v10
	v_sub_nc_u32_e32 v7, v7, v26
	;; [unrolled: 1-line block ×3, first 2 shown]
	v_and_b32_e32 v15, 0xffff, v32
	v_mul_lo_u16 v40, v49, 9
	ds_load_b64 v[25:26], v9 offset:20736
	ds_load_b64 v[31:32], v9 offset:24192
	ds_load_b64 v[33:34], v7
	ds_load_b64 v[35:36], v9
	ds_load_b64 v[37:38], v9 offset:10368
	v_and_b32_e32 v46, 0xffff, v39
	v_sub_nc_u16 v45, v28, v40
	ds_load_b64 v[39:40], v9 offset:13824
	ds_load_b64 v[41:42], v9 offset:17280
	v_mul_u32_u24_e32 v52, 9, v46
	v_and_b32_e32 v51, 0xff, v45
	s_delay_alu instid0(VALU_DEP_2) | instskip(NEXT) | instid1(VALU_DEP_1)
	v_add_lshl_u32 v48, v52, v48, 7
	v_add3_u32 v48, 0, v48, v16
	s_wait_loadcnt_dscnt 0x206
	v_mul_f32_e32 v52, v14, v26
	v_mul_f32_e32 v14, v14, v25
	s_wait_loadcnt_dscnt 0x0
	s_delay_alu instid0(VALU_DEP_2) | instskip(SKIP_1) | instid1(VALU_DEP_2)
	v_dual_fmac_f32 v52, v13, v25 :: v_dual_mul_f32 v25, v22, v42
	v_mul_f32_e32 v22, v22, v41
	v_fmac_f32_e32 v25, v21, v41
	v_mul_u32_u24_e32 v50, 9, v44
	s_delay_alu instid0(VALU_DEP_1) | instskip(SKIP_2) | instid1(VALU_DEP_3)
	v_add_lshl_u32 v47, v50, v47, 7
	v_mul_f32_e32 v50, v12, v38
	v_mul_f32_e32 v12, v12, v37
	v_add3_u32 v47, 0, v47, v16
	s_delay_alu instid0(VALU_DEP_3) | instskip(SKIP_1) | instid1(VALU_DEP_4)
	v_fmac_f32_e32 v50, v11, v37
	v_mul_u32_u24_e32 v15, 9, v15
	v_fma_f32 v11, v11, v38, -v12
	v_fma_f32 v12, v13, v26, -v14
	v_mul_f32_e32 v13, v18, v40
	v_mul_f32_e32 v14, v18, v39
	v_add_lshl_u32 v15, v15, v43, 7
	ds_load_b64 v[43:44], v10
	ds_load_b64 v[45:46], v9 offset:27648
	v_mul_f32_e32 v18, v20, v32
	v_mul_f32_e32 v20, v20, v31
	v_lshlrev_b32_e32 v53, 6, v51
	v_fmac_f32_e32 v13, v17, v39
	v_fma_f32 v14, v17, v40, -v14
	v_fma_f32 v17, v21, v42, -v22
	v_add_f32_e32 v21, v35, v50
	v_fmac_f32_e32 v18, v19, v31
	v_fma_f32 v19, v19, v32, -v20
	v_add_f32_e32 v31, v11, v12
	v_add_f32_e32 v39, v33, v25
	v_add3_u32 v15, 0, v15, v16
	global_wb scope:SCOPE_SE
	s_wait_dscnt 0x0
	v_add_f32_e32 v37, v14, v19
	s_barrier_signal -1
	s_barrier_wait -1
	global_inv scope:SCOPE_SE
	v_mul_f32_e32 v26, v46, v24
	v_mul_f32_e32 v24, v45, v24
	s_delay_alu instid0(VALU_DEP_2) | instskip(NEXT) | instid1(VALU_DEP_2)
	v_fmac_f32_e32 v26, v45, v23
	v_fma_f32 v20, v46, v23, -v24
	v_sub_f32_e32 v23, v11, v12
	v_add_f32_e32 v22, v50, v52
	v_dual_add_f32 v24, v36, v11 :: v_dual_add_f32 v11, v21, v52
	s_delay_alu instid0(VALU_DEP_4) | instskip(SKIP_1) | instid1(VALU_DEP_4)
	v_dual_fmac_f32 v36, -0.5, v31 :: v_dual_sub_f32 v41, v17, v20
	v_add_f32_e32 v31, v44, v14
	v_fma_f32 v35, -0.5, v22, v35
	v_add_f32_e32 v22, v13, v18
	v_dual_add_f32 v12, v24, v12 :: v_dual_add_f32 v21, v43, v13
	v_dual_sub_f32 v24, v14, v19 :: v_dual_add_f32 v45, v17, v20
	s_delay_alu instid0(VALU_DEP_4)
	v_dual_sub_f32 v38, v13, v18 :: v_dual_fmamk_f32 v13, v23, 0xbf5db3d7, v35
	v_fmac_f32_e32 v35, 0x3f5db3d7, v23
	v_fma_f32 v43, -0.5, v22, v43
	v_add_f32_e32 v40, v25, v26
	v_dual_sub_f32 v32, v50, v52 :: v_dual_sub_f32 v25, v25, v26
	v_fmac_f32_e32 v44, -0.5, v37
	v_dual_add_f32 v42, v34, v17 :: v_dual_add_f32 v17, v21, v18
	v_dual_fmac_f32 v34, -0.5, v45 :: v_dual_fmamk_f32 v21, v24, 0xbf5db3d7, v43
	v_fma_f32 v33, -0.5, v40, v33
	v_fmamk_f32 v14, v32, 0x3f5db3d7, v36
	v_fmac_f32_e32 v36, 0xbf5db3d7, v32
	v_dual_add_f32 v18, v31, v19 :: v_dual_fmac_f32 v43, 0x3f5db3d7, v24
	v_fmamk_f32 v22, v38, 0x3f5db3d7, v44
	v_fmac_f32_e32 v44, 0xbf5db3d7, v38
	v_dual_add_f32 v19, v39, v26 :: v_dual_add_f32 v20, v42, v20
	v_fmamk_f32 v23, v41, 0xbf5db3d7, v33
	v_dual_fmac_f32 v33, 0x3f5db3d7, v41 :: v_dual_fmamk_f32 v24, v25, 0x3f5db3d7, v34
	v_fmac_f32_e32 v34, 0xbf5db3d7, v25
	ds_store_2addr_b64 v15, v[11:12], v[13:14] offset1:48
	ds_store_b64 v15, v[35:36] offset:768
	ds_store_2addr_b64 v47, v[17:18], v[21:22] offset1:48
	ds_store_b64 v47, v[43:44] offset:768
	ds_store_2addr_b64 v48, v[19:20], v[23:24] offset1:48
	ds_store_b64 v48, v[33:34] offset:768
	global_wb scope:SCOPE_SE
	s_wait_dscnt 0x0
	s_barrier_signal -1
	s_barrier_wait -1
	global_inv scope:SCOPE_SE
	s_clause 0x3
	global_load_b128 v[11:14], v53, s[20:21] offset:48
	global_load_b128 v[17:20], v53, s[20:21] offset:64
	;; [unrolled: 1-line block ×4, first 2 shown]
	ds_load_b64 v[25:26], v10
	ds_load_b64 v[35:36], v7
	v_and_b32_e32 v15, 0xffff, v49
	ds_load_b64 v[37:38], v9 offset:10368
	s_wait_loadcnt_dscnt 0x302
	v_mul_f32_e32 v52, v12, v26
	v_mul_u32_u24_e32 v15, 0x51, v15
	s_wait_dscnt 0x1
	s_delay_alu instid0(VALU_DEP_2) | instskip(NEXT) | instid1(VALU_DEP_2)
	v_dual_mul_f32 v53, v14, v36 :: v_dual_fmac_f32 v52, v11, v25
	v_add_lshl_u32 v15, v15, v51, 7
	s_delay_alu instid0(VALU_DEP_2) | instskip(NEXT) | instid1(VALU_DEP_2)
	v_fmac_f32_e32 v53, v13, v35
	v_add3_u32 v6, 0, v15, v16
	ds_load_b64 v[15:16], v9 offset:13824
	ds_load_b64 v[39:40], v9
	ds_load_b64 v[41:42], v9 offset:17280
	ds_load_b64 v[43:44], v9 offset:20736
	;; [unrolled: 1-line block ×4, first 2 shown]
	v_add_nc_u32_e32 v50, 0x1000, v6
	v_add_nc_u32_e32 v49, 0x800, v6
	;; [unrolled: 1-line block ×3, first 2 shown]
	global_wb scope:SCOPE_SE
	s_wait_loadcnt_dscnt 0x0
	s_barrier_signal -1
	s_barrier_wait -1
	global_inv scope:SCOPE_SE
	v_mul_f32_e32 v55, v20, v16
	v_mul_f32_e32 v12, v12, v25
	v_dual_mul_f32 v57, v44, v24 :: v_dual_mul_f32 v54, v18, v38
	v_dual_mul_f32 v59, v48, v34 :: v_dual_mul_f32 v14, v14, v35
	s_delay_alu instid0(VALU_DEP_4) | instskip(NEXT) | instid1(VALU_DEP_4)
	v_fmac_f32_e32 v55, v19, v15
	v_fma_f32 v11, v11, v26, -v12
	s_delay_alu instid0(VALU_DEP_4) | instskip(NEXT) | instid1(VALU_DEP_4)
	v_fmac_f32_e32 v57, v43, v23
	v_fmac_f32_e32 v59, v47, v33
	v_fma_f32 v12, v13, v36, -v14
	v_mul_f32_e32 v58, v46, v32
	v_mul_f32_e32 v56, v22, v42
	s_delay_alu instid0(VALU_DEP_4) | instskip(SKIP_1) | instid1(VALU_DEP_4)
	v_dual_mul_f32 v22, v22, v41 :: v_dual_sub_f32 v25, v52, v59
	v_mul_f32_e32 v18, v18, v37
	v_fmac_f32_e32 v58, v45, v31
	v_mul_f32_e32 v20, v20, v15
	s_delay_alu instid0(VALU_DEP_4)
	v_dual_mul_f32 v34, v47, v34 :: v_dual_mul_f32 v35, 0x3f248dbb, v25
	v_fmac_f32_e32 v56, v21, v41
	v_fma_f32 v15, v21, v42, -v22
	v_add_f32_e32 v21, v53, v58
	v_fma_f32 v14, v19, v16, -v20
	v_dual_add_f32 v19, v52, v59 :: v_dual_fmac_f32 v54, v17, v37
	v_fma_f32 v16, v48, v33, -v34
	v_fma_f32 v13, v17, v38, -v18
	s_delay_alu instid0(VALU_DEP_3) | instskip(SKIP_3) | instid1(VALU_DEP_4)
	v_fmamk_f32 v37, v19, 0x3f441b7d, v39
	v_add_f32_e32 v33, v55, v56
	v_mul_f32_e32 v24, v43, v24
	v_mul_f32_e32 v32, v45, v32
	v_dual_add_f32 v20, v11, v16 :: v_dual_fmac_f32 v37, 0x3e31d0d4, v21
	s_delay_alu instid0(VALU_DEP_4) | instskip(NEXT) | instid1(VALU_DEP_4)
	v_fmamk_f32 v43, v33, 0x3f441b7d, v39
	v_fma_f32 v18, v44, v23, -v24
	s_delay_alu instid0(VALU_DEP_4)
	v_fma_f32 v17, v46, v31, -v32
	v_sub_f32_e32 v32, v14, v15
	v_dual_add_f32 v23, v54, v57 :: v_dual_sub_f32 v16, v11, v16
	v_add_f32_e32 v47, v21, v19
	v_add_f32_e32 v24, v13, v18
	v_dual_sub_f32 v13, v13, v18 :: v_dual_sub_f32 v18, v55, v56
	s_delay_alu instid0(VALU_DEP_4) | instskip(SKIP_2) | instid1(VALU_DEP_4)
	v_dual_add_f32 v22, v12, v17 :: v_dual_add_f32 v11, v23, v39
	v_sub_f32_e32 v31, v54, v57
	v_sub_f32_e32 v17, v12, v17
	v_dual_add_f32 v45, v18, v25 :: v_dual_sub_f32 v26, v53, v58
	v_add_f32_e32 v34, v14, v15
	v_dual_mul_f32 v36, 0x3f248dbb, v16 :: v_dual_add_f32 v57, v33, v47
	v_fmac_f32_e32 v43, 0x3e31d0d4, v19
	s_delay_alu instid0(VALU_DEP_4) | instskip(SKIP_3) | instid1(VALU_DEP_4)
	v_fmac_f32_e32 v35, 0x3f7c1c5c, v26
	v_mul_f32_e32 v41, 0xbf248dbb, v18
	v_dual_fmac_f32 v37, -0.5, v23 :: v_dual_mul_f32 v52, 0x3f7c1c5c, v18
	v_fmac_f32_e32 v11, -0.5, v57
	v_fmac_f32_e32 v35, 0x3f5db3d7, v31
	s_delay_alu instid0(VALU_DEP_4)
	v_fmac_f32_e32 v41, 0x3f7c1c5c, v25
	v_mul_f32_e32 v42, 0xbf248dbb, v32
	v_add_f32_e32 v46, v32, v16
	v_add_f32_e32 v48, v22, v20
	v_mul_f32_e32 v53, 0x3f7c1c5c, v32
	v_dual_fmac_f32 v41, 0xbf5db3d7, v31 :: v_dual_add_f32 v12, v24, v40
	v_dual_fmac_f32 v42, 0x3f7c1c5c, v16 :: v_dual_sub_f32 v45, v45, v26
	v_dual_fmamk_f32 v44, v34, 0x3f441b7d, v40 :: v_dual_fmac_f32 v43, -0.5, v23
	v_dual_sub_f32 v46, v46, v17 :: v_dual_fmac_f32 v35, 0x3eaf1d44, v18
	s_delay_alu instid0(VALU_DEP_3) | instskip(NEXT) | instid1(VALU_DEP_2)
	v_dual_add_f32 v58, v34, v48 :: v_dual_mul_f32 v59, 0x3f5db3d7, v45
	v_dual_fmac_f32 v42, 0xbf5db3d7, v13 :: v_dual_fmac_f32 v11, 0xbf5db3d7, v46
	v_dual_fmamk_f32 v38, v20, 0x3f441b7d, v40 :: v_dual_add_f32 v47, v23, v47
	v_fma_f32 v53, 0xbf248dbb, v17, -v53
	s_delay_alu instid0(VALU_DEP_4) | instskip(NEXT) | instid1(VALU_DEP_4)
	v_dual_fmac_f32 v12, -0.5, v58 :: v_dual_fmac_f32 v43, 0xbf708fb2, v21
	v_fmac_f32_e32 v42, 0x3eaf1d44, v17
	v_fmac_f32_e32 v36, 0x3f7c1c5c, v17
	s_delay_alu instid0(VALU_DEP_4) | instskip(NEXT) | instid1(VALU_DEP_3)
	v_dual_add_f32 v48, v24, v48 :: v_dual_fmac_f32 v53, 0x3f5db3d7, v13
	v_dual_fmamk_f32 v54, v21, 0x3f441b7d, v39 :: v_dual_sub_f32 v17, v43, v42
	s_delay_alu instid0(VALU_DEP_3) | instskip(SKIP_1) | instid1(VALU_DEP_4)
	v_dual_fmac_f32 v36, 0x3f5db3d7, v13 :: v_dual_add_f32 v13, v55, v47
	v_fmac_f32_e32 v38, 0x3e31d0d4, v22
	v_dual_add_f32 v14, v14, v48 :: v_dual_fmac_f32 v37, 0xbf708fb2, v33
	s_delay_alu instid0(VALU_DEP_3) | instskip(SKIP_1) | instid1(VALU_DEP_4)
	v_dual_fmac_f32 v36, 0x3eaf1d44, v32 :: v_dual_add_f32 v13, v56, v13
	v_fmac_f32_e32 v54, 0x3e31d0d4, v33
	v_fmac_f32_e32 v38, -0.5, v24
	s_delay_alu instid0(VALU_DEP_3) | instskip(NEXT) | instid1(VALU_DEP_3)
	v_dual_add_f32 v14, v15, v14 :: v_dual_sub_f32 v15, v37, v36
	v_dual_fmac_f32 v53, 0x3eaf1d44, v16 :: v_dual_fmac_f32 v54, -0.5, v23
	v_fma_f32 v52, 0xbf248dbb, v26, -v52
	s_delay_alu instid0(VALU_DEP_3)
	v_add_f32_e32 v14, v40, v14
	v_fmac_f32_e32 v40, 0x3f441b7d, v22
	v_fmac_f32_e32 v41, 0x3eaf1d44, v26
	;; [unrolled: 1-line block ×6, first 2 shown]
	s_delay_alu instid0(VALU_DEP_4) | instskip(NEXT) | instid1(VALU_DEP_4)
	v_dual_fmac_f32 v38, 0xbf708fb2, v34 :: v_dual_sub_f32 v21, v54, v53
	v_fmac_f32_e32 v44, -0.5, v24
	s_delay_alu instid0(VALU_DEP_4) | instskip(NEXT) | instid1(VALU_DEP_4)
	v_fmac_f32_e32 v52, 0x3eaf1d44, v25
	v_fmac_f32_e32 v40, -0.5, v24
	v_mul_f32_e32 v60, 0x3f5db3d7, v46
	v_fmac_f32_e32 v12, 0x3f5db3d7, v45
	v_fmac_f32_e32 v44, 0xbf708fb2, v22
	v_add_f32_e32 v16, v35, v38
	v_dual_fmac_f32 v40, 0xbf708fb2, v20 :: v_dual_add_f32 v13, v39, v13
	v_fma_f32 v19, 2.0, v60, v11
	s_delay_alu instid0(VALU_DEP_4) | instskip(SKIP_1) | instid1(VALU_DEP_4)
	v_add_f32_e32 v18, v41, v44
	v_fma_f32 v20, -2.0, v59, v12
	v_add_f32_e32 v22, v52, v40
	v_fma_f32 v25, 2.0, v42, v17
	v_fma_f32 v23, 2.0, v36, v15
	v_fma_f32 v26, -2.0, v41, v18
	v_fma_f32 v24, -2.0, v35, v16
	v_fma_f32 v31, 2.0, v53, v21
	v_fma_f32 v32, -2.0, v52, v22
	ds_store_2addr_b64 v6, v[13:14], v[15:16] offset1:144
	ds_store_2addr_b64 v49, v[17:18], v[11:12] offset0:32 offset1:176
	ds_store_2addr_b64 v51, v[19:20], v[25:26] offset0:96 offset1:240
	ds_store_b64 v6, v[23:24] offset:9216
	ds_store_2addr_b64 v50, v[21:22], v[31:32] offset0:64 offset1:208
	global_wb scope:SCOPE_SE
	s_wait_dscnt 0x0
	s_barrier_signal -1
	s_barrier_wait -1
	global_inv scope:SCOPE_SE
	s_wait_alu 0xfffe
	s_and_saveexec_b32 s13, s12
	s_cbranch_execz .LBB0_16
; %bb.15:
	v_subrev_nc_u32_e32 v6, 27, v28
	v_cmp_gt_u32_e32 vcc_lo, 0x1b0, v0
	v_mul_lo_u32 v44, v5, v1
	s_load_b64 s[12:13], s[0:1], 0x8
	v_mul_lo_u32 v23, v5, v3
	v_dual_cndmask_b32 v6, v6, v30 :: v_dual_lshlrev_b32 v11, 4, v28
	v_mov_b32_e32 v20, 0
	v_mul_lo_u32 v24, v5, v28
	v_mul_lo_u32 v8, s4, v8
	global_load_b128 v[11:14], v11, s[20:21] offset:624
	v_lshlrev_b32_e32 v19, 1, v6
	v_and_b32_e32 v25, 0xff, v23
	v_lshrrev_b32_e32 v31, 13, v23
	v_lshrrev_b32_e32 v23, 5, v23
	;; [unrolled: 1-line block ×3, first 2 shown]
	v_lshlrev_b64_e32 v[15:16], 3, v[19:20]
	v_subrev_nc_u32_e32 v19, 54, v28
	v_lshrrev_b32_e32 v33, 13, v24
	v_lshlrev_b32_e32 v25, 3, v25
	v_mul_lo_u32 v67, v5, v6
	v_and_b32_e32 v35, 0xff, v24
	v_add_co_u32 v15, vcc_lo, s20, v15
	s_wait_alu 0xfffd
	v_add_co_ci_u32_e32 v16, vcc_lo, s21, v16, vcc_lo
	v_cmp_gt_u32_e32 vcc_lo, 0x360, v0
	v_and_b32_e32 v34, 0x7f8, v23
	v_and_b32_e32 v38, 0x7f8, v32
	global_load_b128 v[15:18], v[15:16], off offset:624
	s_wait_alu 0xfffd
	v_dual_cndmask_b32 v43, v19, v29 :: v_dual_and_b32 v26, 0xff, v44
	v_lshrrev_b32_e32 v36, 5, v24
	v_lshrrev_b32_e32 v44, 13, v44
	v_and_b32_e32 v47, 0xff, v67
	s_delay_alu instid0(VALU_DEP_4)
	v_lshlrev_b32_e32 v37, 3, v26
	v_lshlrev_b32_e32 v19, 1, v43
	v_mul_lo_u32 v69, v5, v43
	v_lshrrev_b32_e32 v48, 5, v67
	v_lshrrev_b32_e32 v73, 13, v67
	s_load_b64 s[0:1], s[0:1], 0x60
	v_lshlrev_b64_e32 v[19:20], 3, v[19:20]
	v_mul_lo_u32 v91, s5, v3
	s_mul_u64 s[10:11], s[10:11], s[16:17]
	v_and_b32_e32 v73, 0x7f8, v73
	v_lshrrev_b32_e32 v55, 5, v69
	v_lshrrev_b32_e32 v74, 13, v69
	v_add_co_u32 v19, vcc_lo, s20, v19
	s_wait_alu 0xfffd
	v_add_co_ci_u32_e32 v20, vcc_lo, s21, v20, vcc_lo
	v_and_b32_e32 v63, 0x7f8, v55
	v_cmp_lt_u32_e32 vcc_lo, 0x35f, v0
	s_mul_u64 s[2:3], s[8:9], s[2:3]
	global_load_b128 v[19:22], v[19:20], off offset:624
	v_add_nc_u32_e32 v45, 0xa2, v6
	v_add_nc_u32_e32 v46, 0x51, v6
	v_add_nc_u32_e32 v6, 0xa2, v43
	s_wait_kmcnt 0x0
	s_clause 0x1
	global_load_b64 v[23:24], v25, s[12:13]
	global_load_b64 v[25:26], v34, s[12:13] offset:2048
	v_and_b32_e32 v39, 0x7f8, v31
	v_mul_lo_u32 v68, v5, v45
	v_add_nc_u32_e32 v45, 0x51, v43
	v_and_b32_e32 v40, 0x7f8, v33
	s_clause 0x1
	global_load_b64 v[31:32], v37, s[12:13]
	global_load_b64 v[33:34], v38, s[12:13] offset:2048
	v_mul_lo_u32 v70, v5, v46
	v_mul_lo_u32 v71, v5, v6
	;; [unrolled: 1-line block ×3, first 2 shown]
	v_lshlrev_b32_e32 v41, 3, v35
	v_and_b32_e32 v5, 0xff, v68
	v_lshrrev_b32_e32 v6, 5, v68
	v_and_b32_e32 v42, 0x7f8, v36
	s_clause 0x3
	global_load_b64 v[35:36], v39, s[12:13] offset:4096
	global_load_b64 v[37:38], v40, s[12:13] offset:4096
	global_load_b64 v[39:40], v41, s[12:13]
	global_load_b64 v[41:42], v42, s[12:13] offset:2048
	v_and_b32_e32 v43, 0x7f8, v44
	v_lshlrev_b32_e32 v44, 3, v5
	v_and_b32_e32 v45, 0x7f8, v6
	v_and_b32_e32 v49, 0xff, v69
	;; [unrolled: 1-line block ×3, first 2 shown]
	s_clause 0x2
	global_load_b64 v[5:6], v43, s[12:13] offset:4096
	global_load_b64 v[43:44], v44, s[12:13]
	global_load_b64 v[45:46], v45, s[12:13] offset:2048
	v_and_b32_e32 v52, 0xff, v71
	v_lshrrev_b32_e32 v51, 5, v70
	v_lshrrev_b32_e32 v54, 5, v71
	v_and_b32_e32 v56, 0xff, v72
	v_lshrrev_b32_e32 v57, 5, v72
	v_lshlrev_b32_e32 v53, 3, v47
	v_and_b32_e32 v47, 0x7f8, v48
	v_lshlrev_b32_e32 v65, 3, v49
	v_lshlrev_b32_e32 v49, 3, v50
	v_lshlrev_b32_e32 v58, 3, v52
	v_and_b32_e32 v51, 0x7f8, v51
	v_and_b32_e32 v59, 0x7f8, v54
	v_lshlrev_b32_e32 v60, 3, v56
	v_and_b32_e32 v61, 0x7f8, v57
	s_clause 0x9
	global_load_b64 v[47:48], v47, s[12:13] offset:2048
	global_load_b64 v[49:50], v49, s[12:13]
	global_load_b64 v[51:52], v51, s[12:13] offset:2048
	global_load_b64 v[53:54], v53, s[12:13]
	global_load_b64 v[55:56], v58, s[12:13]
	global_load_b64 v[57:58], v59, s[12:13] offset:2048
	global_load_b64 v[59:60], v60, s[12:13]
	global_load_b64 v[61:62], v61, s[12:13] offset:2048
	global_load_b64 v[63:64], v63, s[12:13] offset:2048
	global_load_b64 v[65:66], v65, s[12:13]
	v_lshrrev_b32_e32 v68, 13, v68
	v_lshrrev_b32_e32 v70, 13, v70
	v_lshrrev_b32_e32 v71, 13, v71
	v_lshrrev_b32_e32 v72, 13, v72
	v_and_b32_e32 v77, 0x7f8, v74
	v_and_b32_e32 v68, 0x7f8, v68
	;; [unrolled: 1-line block ×5, first 2 shown]
	s_clause 0x5
	global_load_b64 v[71:72], v73, s[12:13] offset:4096
	global_load_b64 v[67:68], v68, s[12:13] offset:4096
	;; [unrolled: 1-line block ×6, first 2 shown]
	ds_load_b64 v[79:80], v9 offset:10368
	ds_load_b64 v[81:82], v9 offset:20736
	ds_load_b64 v[83:84], v9 offset:17280
	ds_load_b64 v[85:86], v9 offset:27648
	s_lshl_b64 s[10:11], s[10:11], 3
	s_mul_u64 s[8:9], s[6:7], s[18:19]
	s_lshl_b64 s[2:3], s[2:3], 3
	s_add_nc_u64 s[0:1], s[0:1], s[10:11]
	s_wait_alu 0xfffe
	s_lshl_b64 s[8:9], s[8:9], 3
	s_add_nc_u64 s[0:1], s[0:1], s[2:3]
	s_wait_alu 0xfffe
	s_add_nc_u64 s[0:1], s[0:1], s[8:9]
	s_wait_loadcnt_dscnt 0x1d02
	v_mul_f32_e32 v89, v14, v81
	v_dual_mul_f32 v90, v14, v82 :: v_dual_mul_f32 v87, v12, v79
	v_mul_f32_e32 v88, v12, v80
	s_delay_alu instid0(VALU_DEP_3) | instskip(NEXT) | instid1(VALU_DEP_3)
	v_fma_f32 v82, v13, v82, -v89
	v_fmac_f32_e32 v90, v13, v81
	s_delay_alu instid0(VALU_DEP_4) | instskip(NEXT) | instid1(VALU_DEP_4)
	v_fma_f32 v87, v11, v80, -v87
	v_fmac_f32_e32 v88, v11, v79
	ds_load_b64 v[11:12], v9 offset:13824
	ds_load_b64 v[13:14], v10
	ds_load_b64 v[79:80], v9 offset:24192
	ds_load_b64 v[9:10], v9
	s_wait_loadcnt_dscnt 0x1c05
	v_mul_f32_e32 v81, v16, v83
	v_mul_f32_e32 v89, v16, v84
	s_delay_alu instid0(VALU_DEP_2) | instskip(NEXT) | instid1(VALU_DEP_2)
	v_fma_f32 v81, v15, v84, -v81
	v_fmac_f32_e32 v89, v15, v83
	s_wait_dscnt 0x4
	v_mul_f32_e32 v15, v85, v18
	v_mul_f32_e32 v83, v86, v18
	v_mul_lo_u32 v84, s5, v28
	s_delay_alu instid0(VALU_DEP_3) | instskip(SKIP_1) | instid1(VALU_DEP_4)
	v_fma_f32 v86, v86, v17, -v15
	v_mad_co_u64_u32 v[15:16], null, s4, v28, 0
	v_fmac_f32_e32 v83, v85, v17
	v_mad_co_u64_u32 v[17:18], null, s6, v27, 0
	v_mul_lo_u32 v28, s5, v1
	v_mul_lo_u32 v85, s4, v2
	v_mad_co_u64_u32 v[1:2], null, s4, v1, 0
	v_add3_u32 v16, v16, v8, v84
	s_wait_alu 0xfffd
	v_cndmask_b32_e64 v8, 0, 0xa2, vcc_lo
	v_cmp_lt_u32_e32 vcc_lo, 0x1af, v0
	v_mul_lo_u32 v84, s4, v4
	v_mad_co_u64_u32 v[3:4], null, s4, v3, 0
	v_add3_u32 v2, v2, v85, v28
	s_wait_alu 0xfffd
	v_cndmask_b32_e64 v0, 0, 0xa2, vcc_lo
	v_add_nc_u32_e32 v29, v8, v29
	v_lshlrev_b64_e32 v[15:16], 3, v[15:16]
	ds_load_b64 v[7:8], v7
	v_add_nc_u32_e32 v30, v0, v30
	v_mov_b32_e32 v0, v18
	v_add3_u32 v4, v4, v84, v91
	s_wait_loadcnt_dscnt 0x1b04
	v_mul_f32_e32 v18, v20, v11
	v_dual_mul_f32 v84, v20, v12 :: v_dual_add_nc_u32 v91, 0xa2, v29
	v_mad_co_u64_u32 v[27:28], null, s7, v27, v[0:1]
	s_delay_alu instid0(VALU_DEP_3) | instskip(NEXT) | instid1(VALU_DEP_3)
	v_fma_f32 v85, v19, v12, -v18
	v_fmac_f32_e32 v84, v19, v11
	v_mad_co_u64_u32 v[11:12], null, s4, v29, 0
	s_wait_dscnt 0x2
	v_mul_f32_e32 v0, v22, v79
	v_lshlrev_b64_e32 v[1:2], 3, v[1:2]
	v_mov_b32_e32 v18, v27
	v_mul_f32_e32 v28, v22, v80
	v_lshlrev_b64_e32 v[3:4], 3, v[3:4]
	v_fma_f32 v80, v21, v80, -v0
	v_mov_b32_e32 v0, v12
	v_lshlrev_b64_e32 v[17:18], 3, v[17:18]
	v_dual_fmac_f32 v28, v21, v79 :: v_dual_add_nc_u32 v79, 0x51, v29
	s_wait_loadcnt 0x17
	v_mul_f32_e32 v27, v32, v34
	v_mad_co_u64_u32 v[21:22], null, s5, v29, v[0:1]
	s_delay_alu instid0(VALU_DEP_4) | instskip(SKIP_3) | instid1(VALU_DEP_3)
	v_add_co_u32 v29, vcc_lo, s0, v17
	s_wait_alu 0xfffd
	v_add_co_ci_u32_e32 v92, vcc_lo, s1, v18, vcc_lo
	v_mad_co_u64_u32 v[17:18], null, s4, v79, 0
	v_add_co_u32 v15, vcc_lo, v29, v15
	s_wait_alu 0xfffd
	s_delay_alu instid0(VALU_DEP_3)
	v_add_co_ci_u32_e32 v16, vcc_lo, v92, v16, vcc_lo
	v_add_co_u32 v0, vcc_lo, v29, v1
	s_wait_alu 0xfffd
	v_add_co_ci_u32_e32 v1, vcc_lo, v92, v2, vcc_lo
	v_add_co_u32 v2, vcc_lo, v29, v3
	s_wait_alu 0xfffd
	v_add_co_ci_u32_e32 v3, vcc_lo, v92, v4, vcc_lo
	v_mul_f32_e32 v4, v24, v26
	v_mul_f32_e32 v26, v23, v26
	v_fma_f32 v27, v31, v33, -v27
	v_mov_b32_e32 v12, v21
	s_delay_alu instid0(VALU_DEP_4) | instskip(NEXT) | instid1(VALU_DEP_4)
	v_fma_f32 v23, v23, v25, -v4
	v_fmac_f32_e32 v26, v24, v25
	v_mul_f32_e32 v24, v31, v34
	s_wait_loadcnt 0x13
	v_mul_f32_e32 v31, v39, v42
	v_dual_mul_f32 v25, v40, v42 :: v_dual_mov_b32 v4, v18
	v_add_f32_e32 v18, v87, v82
	v_fmac_f32_e32 v24, v32, v33
	s_wait_loadcnt 0x10
	v_dual_fmac_f32 v31, v40, v41 :: v_dual_mul_f32 v40, v43, v46
	v_mad_co_u64_u32 v[21:22], null, s4, v91, 0
	v_fma_f32 v25, v39, v41, -v25
	v_add_f32_e32 v32, v88, v90
	s_wait_dscnt 0x1
	v_dual_sub_f32 v33, v88, v90 :: v_dual_add_f32 v34, v10, v87
	v_add_f32_e32 v39, v9, v88
	v_fma_f32 v10, -0.5, v18, v10
	v_fma_f32 v18, -0.5, v32, v9
	v_dual_mov_b32 v9, v22 :: v_dual_sub_f32 v22, v87, v82
	v_add_f32_e32 v32, v34, v82
	s_delay_alu instid0(VALU_DEP_4) | instskip(SKIP_1) | instid1(VALU_DEP_4)
	v_dual_add_f32 v34, v39, v90 :: v_dual_fmamk_f32 v39, v33, 0xbf5db3d7, v10
	v_dual_fmac_f32 v10, 0x3f5db3d7, v33 :: v_dual_mul_f32 v33, v44, v46
	v_fmamk_f32 v41, v22, 0x3f5db3d7, v18
	v_fmac_f32_e32 v18, 0xbf5db3d7, v22
	v_mul_f32_e32 v22, v26, v36
	v_fmac_f32_e32 v40, v44, v45
	v_fma_f32 v33, v43, v45, -v33
	v_mul_f32_e32 v43, v31, v38
	v_mul_f32_e32 v36, v23, v36
	;; [unrolled: 1-line block ×4, first 2 shown]
	v_fma_f32 v23, v35, v23, -v22
	v_mul_f32_e32 v38, v25, v38
	s_wait_loadcnt 0xd
	v_mul_f32_e32 v22, v50, v52
	v_fma_f32 v43, v37, v25, -v43
	s_wait_loadcnt 0x8
	v_mul_f32_e32 v45, v59, v62
	v_fmac_f32_e32 v36, v35, v26
	v_mul_f32_e32 v26, v49, v52
	s_wait_loadcnt 0x6
	v_mul_f32_e32 v25, v66, v64
	v_fma_f32 v27, v5, v27, -v42
	v_mul_f32_e32 v42, v53, v48
	v_mul_f32_e32 v35, v54, v48
	v_fma_f32 v46, v49, v51, -v22
	v_dual_fmac_f32 v26, v50, v51 :: v_dual_sub_f32 v49, v81, v86
	s_wait_dscnt 0x0
	v_dual_add_f32 v50, v89, v83 :: v_dual_add_f32 v51, v8, v81
	v_fmac_f32_e32 v38, v37, v31
	v_mul_f32_e32 v31, v65, v64
	v_dual_fmac_f32 v6, v5, v24 :: v_dual_mul_f32 v5, v56, v58
	v_dual_add_f32 v37, v81, v86 :: v_dual_add_f32 v52, v7, v89
	v_dual_fmac_f32 v42, v54, v47 :: v_dual_fmac_f32 v45, v60, v61
	v_mul_f32_e32 v44, v55, v58
	v_mul_f32_e32 v24, v60, v62
	v_fma_f32 v54, v65, v63, -v25
	v_mul_f32_e32 v25, v41, v36
	v_sub_f32_e32 v48, v89, v83
	v_fma_f32 v35, v53, v47, -v35
	v_fma_f32 v47, v55, v57, -v5
	v_dual_fmac_f32 v44, v56, v57 :: v_dual_fmac_f32 v31, v66, v63
	v_mul_f32_e32 v5, v39, v36
	v_fma_f32 v53, v59, v61, -v24
	s_wait_loadcnt 0x3
	v_mul_f32_e32 v61, v26, v70
	v_mul_f32_e32 v55, v34, v38
	v_dual_mul_f32 v36, v18, v6 :: v_dual_fmac_f32 v5, v41, v23
	v_fma_f32 v8, -0.5, v37, v8
	v_add_f32_e32 v57, v14, v85
	v_mul_f32_e32 v59, v40, v68
	v_fma_f32 v37, -0.5, v50, v7
	v_mul_f32_e32 v22, v10, v6
	v_dual_add_f32 v50, v52, v83 :: v_dual_add_f32 v7, v85, v80
	v_fma_f32 v6, v39, v23, -v25
	s_wait_loadcnt 0x0
	v_mul_f32_e32 v39, v54, v78
	v_dual_mul_f32 v24, v32, v38 :: v_dual_mul_f32 v63, v42, v72
	v_add_f32_e32 v38, v51, v86
	v_fma_f32 v23, v10, v27, -v36
	s_delay_alu instid0(VALU_DEP_4)
	v_fmac_f32_e32 v39, v77, v31
	v_fmac_f32_e32 v22, v18, v27
	v_fmamk_f32 v18, v49, 0x3f5db3d7, v37
	v_dual_fmac_f32 v37, 0xbf5db3d7, v49 :: v_dual_mul_f32 v64, v35, v72
	v_mul_f32_e32 v72, v31, v78
	v_fma_f32 v27, -0.5, v7, v14
	v_dual_add_f32 v14, v57, v80 :: v_dual_add_nc_u32 v31, 0xa2, v30
	v_mul_f32_e32 v60, v33, v68
	v_sub_f32_e32 v51, v84, v28
	v_add_f32_e32 v56, v84, v28
	v_add_f32_e32 v58, v13, v84
	v_fma_f32 v25, v32, v43, -v55
	v_fmac_f32_e32 v24, v34, v43
	v_dual_mul_f32 v7, v14, v39 :: v_dual_fmac_f32 v60, v67, v40
	v_mul_f32_e32 v66, v47, v74
	v_dual_sub_f32 v52, v85, v80 :: v_dual_mul_f32 v65, v44, v74
	v_add_f32_e32 v28, v58, v28
	v_fma_f32 v40, v77, v54, -v72
	v_mul_f32_e32 v62, v46, v70
	s_clause 0x2
	global_store_b64 v[15:16], v[24:25], off
	global_store_b64 v[0:1], v[22:23], off
	;; [unrolled: 1-line block ×3, first 2 shown]
	v_fmamk_f32 v16, v51, 0xbf5db3d7, v27
	v_fmac_f32_e32 v27, 0x3f5db3d7, v51
	v_fmac_f32_e32 v7, v28, v40
	v_fma_f32 v32, -0.5, v56, v13
	v_mul_f32_e32 v1, v18, v60
	v_fmac_f32_e32 v66, v73, v44
	v_mul_f32_e32 v68, v45, v76
	v_mad_co_u64_u32 v[19:20], null, s4, v30, 0
	v_fmamk_f32 v22, v52, 0x3f5db3d7, v32
	s_delay_alu instid0(VALU_DEP_4) | instskip(NEXT) | instid1(VALU_DEP_4)
	v_mul_f32_e32 v13, v16, v66
	v_fma_f32 v36, v75, v53, -v68
	v_fmac_f32_e32 v32, 0xbf5db3d7, v52
	v_fmac_f32_e32 v62, v69, v26
	v_fma_f32 v26, v71, v35, -v63
	v_fma_f32 v34, v69, v46, -v61
	;; [unrolled: 1-line block ×3, first 2 shown]
	s_delay_alu instid0(VALU_DEP_4) | instskip(SKIP_3) | instid1(VALU_DEP_3)
	v_dual_fmamk_f32 v10, v48, 0xbf5db3d7, v8 :: v_dual_mul_f32 v3, v37, v62
	v_fmac_f32_e32 v64, v71, v42
	v_dual_fmac_f32 v8, 0x3f5db3d7, v48 :: v_dual_mul_f32 v23, v28, v39
	v_mul_f32_e32 v24, v22, v66
	v_dual_mul_f32 v5, v38, v64 :: v_dual_add_nc_u32 v28, 0x51, v30
	v_mul_f32_e32 v70, v53, v76
	v_mul_f32_e32 v6, v50, v64
	v_fma_f32 v3, v8, v34, -v3
	v_fmac_f32_e32 v13, v22, v35
	s_delay_alu instid0(VALU_DEP_4) | instskip(SKIP_3) | instid1(VALU_DEP_4)
	v_dual_fmac_f32 v5, v50, v26 :: v_dual_fmac_f32 v70, v75, v45
	v_fma_f32 v33, v67, v33, -v59
	v_lshlrev_b64_e32 v[11:12], 3, v[11:12]
	v_fma_f32 v6, v38, v26, -v6
	v_dual_mul_f32 v0, v10, v60 :: v_dual_mul_f32 v15, v27, v70
	v_mul_f32_e32 v25, v32, v70
	v_fma_f32 v1, v10, v33, -v1
	v_mad_co_u64_u32 v[9:10], null, s5, v91, v[9:10]
	s_delay_alu instid0(VALU_DEP_4)
	v_fmac_f32_e32 v15, v32, v36
	v_mul_f32_e32 v2, v8, v62
	v_fma_f32 v8, v14, v40, -v23
	v_mad_co_u64_u32 v[22:23], null, s5, v79, v[4:5]
	v_mov_b32_e32 v4, v20
	v_fma_f32 v14, v16, v35, -v24
	v_mad_co_u64_u32 v[23:24], null, s4, v28, 0
	v_fma_f32 v16, v27, v36, -v25
	s_delay_alu instid0(VALU_DEP_4)
	v_mad_co_u64_u32 v[25:26], null, s5, v30, v[4:5]
	v_mad_co_u64_u32 v[26:27], null, s4, v31, 0
	v_add_co_u32 v11, vcc_lo, v29, v11
	v_mov_b32_e32 v4, v24
	s_wait_alu 0xfffd
	v_add_co_ci_u32_e32 v12, vcc_lo, v92, v12, vcc_lo
	v_fmac_f32_e32 v0, v18, v33
	v_mov_b32_e32 v18, v22
	v_mov_b32_e32 v22, v9
	v_mad_co_u64_u32 v[9:10], null, s5, v28, v[4:5]
	v_mov_b32_e32 v4, v27
	global_store_b64 v[11:12], v[7:8], off
	v_lshlrev_b64_e32 v[7:8], 3, v[17:18]
	v_mov_b32_e32 v20, v25
	v_lshlrev_b64_e32 v[10:11], 3, v[21:22]
	v_mad_co_u64_u32 v[17:18], null, s5, v31, v[4:5]
	v_mov_b32_e32 v24, v9
	v_add_co_u32 v7, vcc_lo, v29, v7
	v_lshlrev_b64_e32 v[18:19], 3, v[19:20]
	s_wait_alu 0xfffd
	v_add_co_ci_u32_e32 v8, vcc_lo, v92, v8, vcc_lo
	v_add_co_u32 v9, vcc_lo, v29, v10
	v_mov_b32_e32 v27, v17
	s_wait_alu 0xfffd
	v_add_co_ci_u32_e32 v10, vcc_lo, v92, v11, vcc_lo
	v_lshlrev_b64_e32 v[11:12], 3, v[23:24]
	v_add_co_u32 v17, vcc_lo, v29, v18
	s_wait_alu 0xfffd
	v_add_co_ci_u32_e32 v18, vcc_lo, v92, v19, vcc_lo
	v_lshlrev_b64_e32 v[19:20], 3, v[26:27]
	s_delay_alu instid0(VALU_DEP_4) | instskip(SKIP_3) | instid1(VALU_DEP_4)
	v_add_co_u32 v11, vcc_lo, v29, v11
	s_wait_alu 0xfffd
	v_add_co_ci_u32_e32 v12, vcc_lo, v92, v12, vcc_lo
	v_fmac_f32_e32 v2, v37, v34
	v_add_co_u32 v19, vcc_lo, v29, v19
	s_wait_alu 0xfffd
	v_add_co_ci_u32_e32 v20, vcc_lo, v92, v20, vcc_lo
	s_clause 0x4
	global_store_b64 v[7:8], v[15:16], off
	global_store_b64 v[9:10], v[13:14], off
	;; [unrolled: 1-line block ×5, first 2 shown]
.LBB0_16:
	s_nop 0
	s_sendmsg sendmsg(MSG_DEALLOC_VGPRS)
	s_endpgm
	.section	.rodata,"a",@progbits
	.p2align	6, 0x0
	.amdhsa_kernel fft_rtc_back_len243_factors_3_3_9_3_wgs_432_tpt_27_dim3_sp_op_CI_CI_sbcc_twdbase8_3step_dirReg
		.amdhsa_group_segment_fixed_size 0
		.amdhsa_private_segment_fixed_size 0
		.amdhsa_kernarg_size 104
		.amdhsa_user_sgpr_count 2
		.amdhsa_user_sgpr_dispatch_ptr 0
		.amdhsa_user_sgpr_queue_ptr 0
		.amdhsa_user_sgpr_kernarg_segment_ptr 1
		.amdhsa_user_sgpr_dispatch_id 0
		.amdhsa_user_sgpr_private_segment_size 0
		.amdhsa_wavefront_size32 1
		.amdhsa_uses_dynamic_stack 0
		.amdhsa_enable_private_segment 0
		.amdhsa_system_sgpr_workgroup_id_x 1
		.amdhsa_system_sgpr_workgroup_id_y 0
		.amdhsa_system_sgpr_workgroup_id_z 0
		.amdhsa_system_sgpr_workgroup_info 0
		.amdhsa_system_vgpr_workitem_id 0
		.amdhsa_next_free_vgpr 93
		.amdhsa_next_free_sgpr 36
		.amdhsa_reserve_vcc 1
		.amdhsa_float_round_mode_32 0
		.amdhsa_float_round_mode_16_64 0
		.amdhsa_float_denorm_mode_32 3
		.amdhsa_float_denorm_mode_16_64 3
		.amdhsa_fp16_overflow 0
		.amdhsa_workgroup_processor_mode 1
		.amdhsa_memory_ordered 1
		.amdhsa_forward_progress 0
		.amdhsa_round_robin_scheduling 0
		.amdhsa_exception_fp_ieee_invalid_op 0
		.amdhsa_exception_fp_denorm_src 0
		.amdhsa_exception_fp_ieee_div_zero 0
		.amdhsa_exception_fp_ieee_overflow 0
		.amdhsa_exception_fp_ieee_underflow 0
		.amdhsa_exception_fp_ieee_inexact 0
		.amdhsa_exception_int_div_zero 0
	.end_amdhsa_kernel
	.text
.Lfunc_end0:
	.size	fft_rtc_back_len243_factors_3_3_9_3_wgs_432_tpt_27_dim3_sp_op_CI_CI_sbcc_twdbase8_3step_dirReg, .Lfunc_end0-fft_rtc_back_len243_factors_3_3_9_3_wgs_432_tpt_27_dim3_sp_op_CI_CI_sbcc_twdbase8_3step_dirReg
                                        ; -- End function
	.section	.AMDGPU.csdata,"",@progbits
; Kernel info:
; codeLenInByte = 7348
; NumSgprs: 38
; NumVgprs: 93
; ScratchSize: 0
; MemoryBound: 0
; FloatMode: 240
; IeeeMode: 1
; LDSByteSize: 0 bytes/workgroup (compile time only)
; SGPRBlocks: 4
; VGPRBlocks: 11
; NumSGPRsForWavesPerEU: 38
; NumVGPRsForWavesPerEU: 93
; Occupancy: 14
; WaveLimiterHint : 1
; COMPUTE_PGM_RSRC2:SCRATCH_EN: 0
; COMPUTE_PGM_RSRC2:USER_SGPR: 2
; COMPUTE_PGM_RSRC2:TRAP_HANDLER: 0
; COMPUTE_PGM_RSRC2:TGID_X_EN: 1
; COMPUTE_PGM_RSRC2:TGID_Y_EN: 0
; COMPUTE_PGM_RSRC2:TGID_Z_EN: 0
; COMPUTE_PGM_RSRC2:TIDIG_COMP_CNT: 0
	.text
	.p2alignl 7, 3214868480
	.fill 96, 4, 3214868480
	.type	__hip_cuid_8e9853d365983db4,@object ; @__hip_cuid_8e9853d365983db4
	.section	.bss,"aw",@nobits
	.globl	__hip_cuid_8e9853d365983db4
__hip_cuid_8e9853d365983db4:
	.byte	0                               ; 0x0
	.size	__hip_cuid_8e9853d365983db4, 1

	.ident	"AMD clang version 19.0.0git (https://github.com/RadeonOpenCompute/llvm-project roc-6.4.0 25133 c7fe45cf4b819c5991fe208aaa96edf142730f1d)"
	.section	".note.GNU-stack","",@progbits
	.addrsig
	.addrsig_sym __hip_cuid_8e9853d365983db4
	.amdgpu_metadata
---
amdhsa.kernels:
  - .args:
      - .actual_access:  read_only
        .address_space:  global
        .offset:         0
        .size:           8
        .value_kind:     global_buffer
      - .address_space:  global
        .offset:         8
        .size:           8
        .value_kind:     global_buffer
      - .actual_access:  read_only
        .address_space:  global
        .offset:         16
        .size:           8
        .value_kind:     global_buffer
      - .actual_access:  read_only
        .address_space:  global
        .offset:         24
        .size:           8
        .value_kind:     global_buffer
      - .actual_access:  read_only
        .address_space:  global
        .offset:         32
        .size:           8
        .value_kind:     global_buffer
      - .offset:         40
        .size:           8
        .value_kind:     by_value
      - .actual_access:  read_only
        .address_space:  global
        .offset:         48
        .size:           8
        .value_kind:     global_buffer
      - .actual_access:  read_only
        .address_space:  global
        .offset:         56
        .size:           8
        .value_kind:     global_buffer
      - .offset:         64
        .size:           4
        .value_kind:     by_value
      - .actual_access:  read_only
        .address_space:  global
        .offset:         72
        .size:           8
        .value_kind:     global_buffer
      - .actual_access:  read_only
        .address_space:  global
        .offset:         80
        .size:           8
        .value_kind:     global_buffer
      - .actual_access:  read_only
        .address_space:  global
        .offset:         88
        .size:           8
        .value_kind:     global_buffer
      - .actual_access:  write_only
        .address_space:  global
        .offset:         96
        .size:           8
        .value_kind:     global_buffer
    .group_segment_fixed_size: 0
    .kernarg_segment_align: 8
    .kernarg_segment_size: 104
    .language:       OpenCL C
    .language_version:
      - 2
      - 0
    .max_flat_workgroup_size: 432
    .name:           fft_rtc_back_len243_factors_3_3_9_3_wgs_432_tpt_27_dim3_sp_op_CI_CI_sbcc_twdbase8_3step_dirReg
    .private_segment_fixed_size: 0
    .sgpr_count:     38
    .sgpr_spill_count: 0
    .symbol:         fft_rtc_back_len243_factors_3_3_9_3_wgs_432_tpt_27_dim3_sp_op_CI_CI_sbcc_twdbase8_3step_dirReg.kd
    .uniform_work_group_size: 1
    .uses_dynamic_stack: false
    .vgpr_count:     93
    .vgpr_spill_count: 0
    .wavefront_size: 32
    .workgroup_processor_mode: 1
amdhsa.target:   amdgcn-amd-amdhsa--gfx1201
amdhsa.version:
  - 1
  - 2
...

	.end_amdgpu_metadata
